;; amdgpu-corpus repo=ROCm/rocFFT kind=compiled arch=gfx1201 opt=O3
	.text
	.amdgcn_target "amdgcn-amd-amdhsa--gfx1201"
	.amdhsa_code_object_version 6
	.protected	fft_rtc_fwd_len1760_factors_2_2_2_2_2_11_5_wgs_176_tpt_176_halfLds_dp_ip_CI_unitstride_sbrr_C2R_dirReg ; -- Begin function fft_rtc_fwd_len1760_factors_2_2_2_2_2_11_5_wgs_176_tpt_176_halfLds_dp_ip_CI_unitstride_sbrr_C2R_dirReg
	.globl	fft_rtc_fwd_len1760_factors_2_2_2_2_2_11_5_wgs_176_tpt_176_halfLds_dp_ip_CI_unitstride_sbrr_C2R_dirReg
	.p2align	8
	.type	fft_rtc_fwd_len1760_factors_2_2_2_2_2_11_5_wgs_176_tpt_176_halfLds_dp_ip_CI_unitstride_sbrr_C2R_dirReg,@function
fft_rtc_fwd_len1760_factors_2_2_2_2_2_11_5_wgs_176_tpt_176_halfLds_dp_ip_CI_unitstride_sbrr_C2R_dirReg: ; @fft_rtc_fwd_len1760_factors_2_2_2_2_2_11_5_wgs_176_tpt_176_halfLds_dp_ip_CI_unitstride_sbrr_C2R_dirReg
; %bb.0:
	s_clause 0x2
	s_load_b128 s[4:7], s[0:1], 0x0
	s_load_b64 s[8:9], s[0:1], 0x50
	s_load_b64 s[10:11], s[0:1], 0x18
	v_mul_u32_u24_e32 v1, 0x175, v0
	v_mov_b32_e32 v3, 0
	s_delay_alu instid0(VALU_DEP_2) | instskip(NEXT) | instid1(VALU_DEP_1)
	v_lshrrev_b32_e32 v1, 16, v1
	v_add_nc_u32_e32 v5, ttmp9, v1
	v_mov_b32_e32 v1, 0
	v_mov_b32_e32 v2, 0
	;; [unrolled: 1-line block ×3, first 2 shown]
	s_wait_kmcnt 0x0
	v_cmp_lt_u64_e64 s2, s[6:7], 2
	s_delay_alu instid0(VALU_DEP_1)
	s_and_b32 vcc_lo, exec_lo, s2
	s_cbranch_vccnz .LBB0_8
; %bb.1:
	s_load_b64 s[2:3], s[0:1], 0x10
	v_mov_b32_e32 v1, 0
	v_mov_b32_e32 v2, 0
	s_add_nc_u64 s[12:13], s[10:11], 8
	s_mov_b64 s[14:15], 1
	s_wait_kmcnt 0x0
	s_add_nc_u64 s[16:17], s[2:3], 8
	s_mov_b32 s3, 0
.LBB0_2:                                ; =>This Inner Loop Header: Depth=1
	s_load_b64 s[18:19], s[16:17], 0x0
                                        ; implicit-def: $vgpr7_vgpr8
	s_mov_b32 s2, exec_lo
	s_wait_kmcnt 0x0
	v_or_b32_e32 v4, s19, v6
	s_delay_alu instid0(VALU_DEP_1)
	v_cmpx_ne_u64_e32 0, v[3:4]
	s_wait_alu 0xfffe
	s_xor_b32 s20, exec_lo, s2
	s_cbranch_execz .LBB0_4
; %bb.3:                                ;   in Loop: Header=BB0_2 Depth=1
	s_cvt_f32_u32 s2, s18
	s_cvt_f32_u32 s21, s19
	s_sub_nc_u64 s[24:25], 0, s[18:19]
	s_wait_alu 0xfffe
	s_delay_alu instid0(SALU_CYCLE_1) | instskip(SKIP_1) | instid1(SALU_CYCLE_2)
	s_fmamk_f32 s2, s21, 0x4f800000, s2
	s_wait_alu 0xfffe
	v_s_rcp_f32 s2, s2
	s_delay_alu instid0(TRANS32_DEP_1) | instskip(SKIP_1) | instid1(SALU_CYCLE_2)
	s_mul_f32 s2, s2, 0x5f7ffffc
	s_wait_alu 0xfffe
	s_mul_f32 s21, s2, 0x2f800000
	s_wait_alu 0xfffe
	s_delay_alu instid0(SALU_CYCLE_2) | instskip(SKIP_1) | instid1(SALU_CYCLE_2)
	s_trunc_f32 s21, s21
	s_wait_alu 0xfffe
	s_fmamk_f32 s2, s21, 0xcf800000, s2
	s_cvt_u32_f32 s23, s21
	s_wait_alu 0xfffe
	s_delay_alu instid0(SALU_CYCLE_1) | instskip(SKIP_1) | instid1(SALU_CYCLE_2)
	s_cvt_u32_f32 s22, s2
	s_wait_alu 0xfffe
	s_mul_u64 s[26:27], s[24:25], s[22:23]
	s_wait_alu 0xfffe
	s_mul_hi_u32 s29, s22, s27
	s_mul_i32 s28, s22, s27
	s_mul_hi_u32 s2, s22, s26
	s_mul_i32 s30, s23, s26
	s_wait_alu 0xfffe
	s_add_nc_u64 s[28:29], s[2:3], s[28:29]
	s_mul_hi_u32 s21, s23, s26
	s_mul_hi_u32 s31, s23, s27
	s_add_co_u32 s2, s28, s30
	s_wait_alu 0xfffe
	s_add_co_ci_u32 s2, s29, s21
	s_mul_i32 s26, s23, s27
	s_add_co_ci_u32 s27, s31, 0
	s_wait_alu 0xfffe
	s_add_nc_u64 s[26:27], s[2:3], s[26:27]
	s_wait_alu 0xfffe
	v_add_co_u32 v4, s2, s22, s26
	s_delay_alu instid0(VALU_DEP_1) | instskip(SKIP_1) | instid1(VALU_DEP_1)
	s_cmp_lg_u32 s2, 0
	s_add_co_ci_u32 s23, s23, s27
	v_readfirstlane_b32 s22, v4
	s_wait_alu 0xfffe
	s_delay_alu instid0(VALU_DEP_1)
	s_mul_u64 s[24:25], s[24:25], s[22:23]
	s_wait_alu 0xfffe
	s_mul_hi_u32 s27, s22, s25
	s_mul_i32 s26, s22, s25
	s_mul_hi_u32 s2, s22, s24
	s_mul_i32 s28, s23, s24
	s_wait_alu 0xfffe
	s_add_nc_u64 s[26:27], s[2:3], s[26:27]
	s_mul_hi_u32 s21, s23, s24
	s_mul_hi_u32 s22, s23, s25
	s_wait_alu 0xfffe
	s_add_co_u32 s2, s26, s28
	s_add_co_ci_u32 s2, s27, s21
	s_mul_i32 s24, s23, s25
	s_add_co_ci_u32 s25, s22, 0
	s_wait_alu 0xfffe
	s_add_nc_u64 s[24:25], s[2:3], s[24:25]
	s_wait_alu 0xfffe
	v_add_co_u32 v4, s2, v4, s24
	s_delay_alu instid0(VALU_DEP_1) | instskip(SKIP_1) | instid1(VALU_DEP_1)
	s_cmp_lg_u32 s2, 0
	s_add_co_ci_u32 s2, s23, s25
	v_mul_hi_u32 v13, v5, v4
	s_wait_alu 0xfffe
	v_mad_co_u64_u32 v[7:8], null, v5, s2, 0
	v_mad_co_u64_u32 v[9:10], null, v6, v4, 0
	;; [unrolled: 1-line block ×3, first 2 shown]
	s_delay_alu instid0(VALU_DEP_3) | instskip(SKIP_1) | instid1(VALU_DEP_4)
	v_add_co_u32 v4, vcc_lo, v13, v7
	s_wait_alu 0xfffd
	v_add_co_ci_u32_e32 v7, vcc_lo, 0, v8, vcc_lo
	s_delay_alu instid0(VALU_DEP_2) | instskip(SKIP_1) | instid1(VALU_DEP_2)
	v_add_co_u32 v4, vcc_lo, v4, v9
	s_wait_alu 0xfffd
	v_add_co_ci_u32_e32 v4, vcc_lo, v7, v10, vcc_lo
	s_wait_alu 0xfffd
	v_add_co_ci_u32_e32 v7, vcc_lo, 0, v12, vcc_lo
	s_delay_alu instid0(VALU_DEP_2) | instskip(SKIP_1) | instid1(VALU_DEP_2)
	v_add_co_u32 v4, vcc_lo, v4, v11
	s_wait_alu 0xfffd
	v_add_co_ci_u32_e32 v9, vcc_lo, 0, v7, vcc_lo
	s_delay_alu instid0(VALU_DEP_2) | instskip(SKIP_1) | instid1(VALU_DEP_3)
	v_mul_lo_u32 v10, s19, v4
	v_mad_co_u64_u32 v[7:8], null, s18, v4, 0
	v_mul_lo_u32 v11, s18, v9
	s_delay_alu instid0(VALU_DEP_2) | instskip(NEXT) | instid1(VALU_DEP_2)
	v_sub_co_u32 v7, vcc_lo, v5, v7
	v_add3_u32 v8, v8, v11, v10
	s_delay_alu instid0(VALU_DEP_1) | instskip(SKIP_1) | instid1(VALU_DEP_1)
	v_sub_nc_u32_e32 v10, v6, v8
	s_wait_alu 0xfffd
	v_subrev_co_ci_u32_e64 v10, s2, s19, v10, vcc_lo
	v_add_co_u32 v11, s2, v4, 2
	s_wait_alu 0xf1ff
	v_add_co_ci_u32_e64 v12, s2, 0, v9, s2
	v_sub_co_u32 v13, s2, v7, s18
	v_sub_co_ci_u32_e32 v8, vcc_lo, v6, v8, vcc_lo
	s_wait_alu 0xf1ff
	v_subrev_co_ci_u32_e64 v10, s2, 0, v10, s2
	s_delay_alu instid0(VALU_DEP_3) | instskip(NEXT) | instid1(VALU_DEP_3)
	v_cmp_le_u32_e32 vcc_lo, s18, v13
	v_cmp_eq_u32_e64 s2, s19, v8
	s_wait_alu 0xfffd
	v_cndmask_b32_e64 v13, 0, -1, vcc_lo
	v_cmp_le_u32_e32 vcc_lo, s19, v10
	s_wait_alu 0xfffd
	v_cndmask_b32_e64 v14, 0, -1, vcc_lo
	v_cmp_le_u32_e32 vcc_lo, s18, v7
	;; [unrolled: 3-line block ×3, first 2 shown]
	s_wait_alu 0xfffd
	v_cndmask_b32_e64 v15, 0, -1, vcc_lo
	v_cmp_eq_u32_e32 vcc_lo, s19, v10
	s_wait_alu 0xf1ff
	s_delay_alu instid0(VALU_DEP_2)
	v_cndmask_b32_e64 v7, v15, v7, s2
	s_wait_alu 0xfffd
	v_cndmask_b32_e32 v10, v14, v13, vcc_lo
	v_add_co_u32 v13, vcc_lo, v4, 1
	s_wait_alu 0xfffd
	v_add_co_ci_u32_e32 v14, vcc_lo, 0, v9, vcc_lo
	s_delay_alu instid0(VALU_DEP_3) | instskip(SKIP_2) | instid1(VALU_DEP_3)
	v_cmp_ne_u32_e32 vcc_lo, 0, v10
	s_wait_alu 0xfffd
	v_cndmask_b32_e32 v10, v13, v11, vcc_lo
	v_cndmask_b32_e32 v8, v14, v12, vcc_lo
	v_cmp_ne_u32_e32 vcc_lo, 0, v7
	s_wait_alu 0xfffd
	s_delay_alu instid0(VALU_DEP_2)
	v_dual_cndmask_b32 v7, v4, v10 :: v_dual_cndmask_b32 v8, v9, v8
.LBB0_4:                                ;   in Loop: Header=BB0_2 Depth=1
	s_wait_alu 0xfffe
	s_and_not1_saveexec_b32 s2, s20
	s_cbranch_execz .LBB0_6
; %bb.5:                                ;   in Loop: Header=BB0_2 Depth=1
	v_cvt_f32_u32_e32 v4, s18
	s_sub_co_i32 s20, 0, s18
	s_delay_alu instid0(VALU_DEP_1) | instskip(NEXT) | instid1(TRANS32_DEP_1)
	v_rcp_iflag_f32_e32 v4, v4
	v_mul_f32_e32 v4, 0x4f7ffffe, v4
	s_delay_alu instid0(VALU_DEP_1) | instskip(SKIP_1) | instid1(VALU_DEP_1)
	v_cvt_u32_f32_e32 v4, v4
	s_wait_alu 0xfffe
	v_mul_lo_u32 v7, s20, v4
	s_delay_alu instid0(VALU_DEP_1) | instskip(NEXT) | instid1(VALU_DEP_1)
	v_mul_hi_u32 v7, v4, v7
	v_add_nc_u32_e32 v4, v4, v7
	s_delay_alu instid0(VALU_DEP_1) | instskip(NEXT) | instid1(VALU_DEP_1)
	v_mul_hi_u32 v4, v5, v4
	v_mul_lo_u32 v7, v4, s18
	v_add_nc_u32_e32 v8, 1, v4
	s_delay_alu instid0(VALU_DEP_2) | instskip(NEXT) | instid1(VALU_DEP_1)
	v_sub_nc_u32_e32 v7, v5, v7
	v_subrev_nc_u32_e32 v9, s18, v7
	v_cmp_le_u32_e32 vcc_lo, s18, v7
	s_wait_alu 0xfffd
	s_delay_alu instid0(VALU_DEP_2) | instskip(NEXT) | instid1(VALU_DEP_1)
	v_dual_cndmask_b32 v7, v7, v9 :: v_dual_cndmask_b32 v4, v4, v8
	v_cmp_le_u32_e32 vcc_lo, s18, v7
	s_delay_alu instid0(VALU_DEP_2) | instskip(SKIP_1) | instid1(VALU_DEP_1)
	v_add_nc_u32_e32 v8, 1, v4
	s_wait_alu 0xfffd
	v_dual_cndmask_b32 v7, v4, v8 :: v_dual_mov_b32 v8, v3
.LBB0_6:                                ;   in Loop: Header=BB0_2 Depth=1
	s_wait_alu 0xfffe
	s_or_b32 exec_lo, exec_lo, s2
	s_load_b64 s[20:21], s[12:13], 0x0
	s_delay_alu instid0(VALU_DEP_1)
	v_mul_lo_u32 v4, v8, s18
	v_mul_lo_u32 v11, v7, s19
	v_mad_co_u64_u32 v[9:10], null, v7, s18, 0
	s_add_nc_u64 s[14:15], s[14:15], 1
	s_add_nc_u64 s[12:13], s[12:13], 8
	s_wait_alu 0xfffe
	v_cmp_ge_u64_e64 s2, s[14:15], s[6:7]
	s_add_nc_u64 s[16:17], s[16:17], 8
	s_delay_alu instid0(VALU_DEP_2) | instskip(NEXT) | instid1(VALU_DEP_3)
	v_add3_u32 v4, v10, v11, v4
	v_sub_co_u32 v5, vcc_lo, v5, v9
	s_wait_alu 0xfffd
	s_delay_alu instid0(VALU_DEP_2) | instskip(SKIP_3) | instid1(VALU_DEP_2)
	v_sub_co_ci_u32_e32 v4, vcc_lo, v6, v4, vcc_lo
	s_and_b32 vcc_lo, exec_lo, s2
	s_wait_kmcnt 0x0
	v_mul_lo_u32 v6, s21, v5
	v_mul_lo_u32 v4, s20, v4
	v_mad_co_u64_u32 v[1:2], null, s20, v5, v[1:2]
	s_delay_alu instid0(VALU_DEP_1)
	v_add3_u32 v2, v6, v2, v4
	s_wait_alu 0xfffe
	s_cbranch_vccnz .LBB0_9
; %bb.7:                                ;   in Loop: Header=BB0_2 Depth=1
	v_dual_mov_b32 v5, v7 :: v_dual_mov_b32 v6, v8
	s_branch .LBB0_2
.LBB0_8:
	v_dual_mov_b32 v8, v6 :: v_dual_mov_b32 v7, v5
.LBB0_9:
	s_lshl_b64 s[2:3], s[6:7], 3
	v_mul_hi_u32 v5, 0x1745d18, v0
	s_wait_alu 0xfffe
	s_add_nc_u64 s[2:3], s[10:11], s[2:3]
	s_load_b64 s[2:3], s[2:3], 0x0
	s_load_b64 s[0:1], s[0:1], 0x20
	s_wait_kmcnt 0x0
	v_mul_lo_u32 v3, s2, v8
	v_mul_lo_u32 v4, s3, v7
	v_mad_co_u64_u32 v[1:2], null, s2, v7, v[1:2]
	v_cmp_gt_u64_e32 vcc_lo, s[0:1], v[7:8]
	s_delay_alu instid0(VALU_DEP_2) | instskip(SKIP_1) | instid1(VALU_DEP_2)
	v_add3_u32 v2, v4, v2, v3
	v_mul_u32_u24_e32 v3, 0xb0, v5
	v_lshlrev_b64_e32 v[82:83], 4, v[1:2]
	s_delay_alu instid0(VALU_DEP_2)
	v_sub_nc_u32_e32 v80, v0, v3
	s_and_saveexec_b32 s1, vcc_lo
	s_cbranch_execz .LBB0_13
; %bb.10:
	v_mov_b32_e32 v81, 0
	s_delay_alu instid0(VALU_DEP_3) | instskip(SKIP_2) | instid1(VALU_DEP_3)
	v_add_co_u32 v0, s0, s8, v82
	s_wait_alu 0xf1ff
	v_add_co_ci_u32_e64 v1, s0, s9, v83, s0
	v_lshlrev_b64_e32 v[2:3], 4, v[80:81]
	v_lshl_add_u32 v42, v80, 4, 0
	s_mov_b32 s2, exec_lo
	s_delay_alu instid0(VALU_DEP_2) | instskip(SKIP_1) | instid1(VALU_DEP_3)
	v_add_co_u32 v38, s0, v0, v2
	s_wait_alu 0xf1ff
	v_add_co_ci_u32_e64 v39, s0, v1, v3, s0
	s_clause 0x9
	global_load_b128 v[2:5], v[38:39], off
	global_load_b128 v[6:9], v[38:39], off offset:2816
	global_load_b128 v[10:13], v[38:39], off offset:5632
	;; [unrolled: 1-line block ×9, first 2 shown]
	s_wait_loadcnt 0x9
	ds_store_b128 v42, v[2:5]
	s_wait_loadcnt 0x8
	ds_store_b128 v42, v[6:9] offset:2816
	s_wait_loadcnt 0x7
	ds_store_b128 v42, v[10:13] offset:5632
	;; [unrolled: 2-line block ×9, first 2 shown]
	v_cmpx_eq_u32_e32 0xaf, v80
	s_cbranch_execz .LBB0_12
; %bb.11:
	global_load_b128 v[0:3], v[0:1], off offset:28160
	v_mov_b32_e32 v80, 0xaf
	s_wait_loadcnt 0x0
	ds_store_b128 v81, v[0:3] offset:28160
.LBB0_12:
	s_wait_alu 0xfffe
	s_or_b32 exec_lo, exec_lo, s2
.LBB0_13:
	s_wait_alu 0xfffe
	s_or_b32 exec_lo, exec_lo, s1
	v_lshlrev_b32_e32 v0, 4, v80
	global_wb scope:SCOPE_SE
	s_wait_dscnt 0x0
	s_barrier_signal -1
	s_barrier_wait -1
	global_inv scope:SCOPE_SE
	v_add_nc_u32_e32 v84, 0, v0
	v_sub_nc_u32_e32 v10, 0, v0
	s_mov_b32 s1, exec_lo
                                        ; implicit-def: $vgpr4_vgpr5
	ds_load_b64 v[6:7], v84
	ds_load_b64 v[8:9], v10 offset:28160
	s_wait_dscnt 0x0
	v_add_f64_e32 v[0:1], v[6:7], v[8:9]
	v_add_f64_e64 v[2:3], v[6:7], -v[8:9]
	v_cmpx_ne_u32_e32 0, v80
	s_wait_alu 0xfffe
	s_xor_b32 s1, exec_lo, s1
	s_cbranch_execz .LBB0_15
; %bb.14:
	v_mov_b32_e32 v81, 0
	v_add_f64_e32 v[13:14], v[6:7], v[8:9]
	v_add_f64_e64 v[15:16], v[6:7], -v[8:9]
	s_delay_alu instid0(VALU_DEP_3) | instskip(NEXT) | instid1(VALU_DEP_1)
	v_lshlrev_b64_e32 v[0:1], 4, v[80:81]
	v_add_co_u32 v0, s0, s4, v0
	s_wait_alu 0xf1ff
	s_delay_alu instid0(VALU_DEP_2)
	v_add_co_ci_u32_e64 v1, s0, s5, v1, s0
	global_load_b128 v[2:5], v[0:1], off offset:28128
	ds_load_b64 v[0:1], v10 offset:28168
	ds_load_b64 v[11:12], v84 offset:8
	s_wait_dscnt 0x0
	v_add_f64_e32 v[6:7], v[0:1], v[11:12]
	v_add_f64_e64 v[0:1], v[11:12], -v[0:1]
	s_wait_loadcnt 0x0
	v_fma_f64 v[8:9], v[15:16], v[4:5], v[13:14]
	v_fma_f64 v[11:12], -v[15:16], v[4:5], v[13:14]
	s_delay_alu instid0(VALU_DEP_3) | instskip(SKIP_1) | instid1(VALU_DEP_4)
	v_fma_f64 v[13:14], v[6:7], v[4:5], -v[0:1]
	v_fma_f64 v[4:5], v[6:7], v[4:5], v[0:1]
	v_fma_f64 v[0:1], -v[6:7], v[2:3], v[8:9]
	s_delay_alu instid0(VALU_DEP_4) | instskip(NEXT) | instid1(VALU_DEP_4)
	v_fma_f64 v[6:7], v[6:7], v[2:3], v[11:12]
	v_fma_f64 v[8:9], v[15:16], v[2:3], v[13:14]
	s_delay_alu instid0(VALU_DEP_4)
	v_fma_f64 v[2:3], v[15:16], v[2:3], v[4:5]
	v_dual_mov_b32 v4, v80 :: v_dual_mov_b32 v5, v81
	ds_store_b128 v10, v[6:9] offset:28160
.LBB0_15:
	s_wait_alu 0xfffe
	s_and_not1_saveexec_b32 s0, s1
	s_cbranch_execz .LBB0_17
; %bb.16:
	v_mov_b32_e32 v8, 0
	ds_load_b128 v[4:7], v8 offset:14080
	s_wait_dscnt 0x0
	v_add_f64_e32 v[11:12], v[4:5], v[4:5]
	v_mul_f64_e32 v[13:14], -2.0, v[6:7]
	v_mov_b32_e32 v4, 0
	v_mov_b32_e32 v5, 0
	ds_store_b128 v8, v[11:14] offset:14080
.LBB0_17:
	s_wait_alu 0xfffe
	s_or_b32 exec_lo, exec_lo, s0
	v_lshlrev_b64_e32 v[4:5], 4, v[4:5]
	s_add_nc_u64 s[0:1], s[4:5], 0x6de0
	v_and_b32_e32 v51, 1, v80
	v_add_nc_u32_e32 v81, 0xb0, v80
	v_add_nc_u32_e32 v48, 0x160, v80
	;; [unrolled: 1-line block ×3, first 2 shown]
	s_wait_alu 0xfffe
	v_add_co_u32 v23, s0, s0, v4
	s_wait_alu 0xf1ff
	v_add_co_ci_u32_e64 v24, s0, s1, v5, s0
	v_add_nc_u32_e32 v50, 0x2c0, v80
	v_lshl_add_u32 v40, v80, 4, v84
	v_lshlrev_b32_e32 v45, 4, v51
	s_clause 0x1
	global_load_b128 v[4:7], v[23:24], off offset:2816
	global_load_b128 v[11:14], v[23:24], off offset:5632
	ds_store_b128 v84, v[0:3]
	ds_load_b128 v[0:3], v84 offset:2816
	ds_load_b128 v[15:18], v10 offset:25344
	global_load_b128 v[19:22], v[23:24], off offset:8448
	v_lshl_add_u32 v41, v81, 5, 0
	v_lshl_add_u32 v42, v48, 5, 0
	;; [unrolled: 1-line block ×4, first 2 shown]
	v_and_b32_e32 v53, 3, v80
	v_and_b32_e32 v54, 7, v80
	v_cmp_gt_u32_e64 s0, 0xa0, v80
	s_wait_dscnt 0x0
	v_add_f64_e32 v[8:9], v[0:1], v[15:16]
	v_add_f64_e32 v[25:26], v[17:18], v[2:3]
	v_add_f64_e64 v[15:16], v[0:1], -v[15:16]
	v_add_f64_e64 v[0:1], v[2:3], -v[17:18]
	s_wait_loadcnt 0x2
	s_delay_alu instid0(VALU_DEP_2) | instskip(NEXT) | instid1(VALU_DEP_2)
	v_fma_f64 v[2:3], v[15:16], v[6:7], v[8:9]
	v_fma_f64 v[17:18], v[25:26], v[6:7], v[0:1]
	v_fma_f64 v[8:9], -v[15:16], v[6:7], v[8:9]
	v_fma_f64 v[27:28], v[25:26], v[6:7], -v[0:1]
	s_delay_alu instid0(VALU_DEP_4) | instskip(NEXT) | instid1(VALU_DEP_4)
	v_fma_f64 v[0:1], -v[25:26], v[4:5], v[2:3]
	v_fma_f64 v[2:3], v[15:16], v[4:5], v[17:18]
	s_delay_alu instid0(VALU_DEP_4) | instskip(NEXT) | instid1(VALU_DEP_4)
	v_fma_f64 v[6:7], v[25:26], v[4:5], v[8:9]
	v_fma_f64 v[8:9], v[15:16], v[4:5], v[27:28]
	ds_store_b128 v84, v[0:3] offset:2816
	ds_store_b128 v10, v[6:9] offset:25344
	ds_load_b128 v[0:3], v84 offset:5632
	ds_load_b128 v[4:7], v10 offset:22528
	global_load_b128 v[15:18], v[23:24], off offset:11264
	s_wait_dscnt 0x0
	v_add_f64_e32 v[8:9], v[0:1], v[4:5]
	v_add_f64_e32 v[23:24], v[6:7], v[2:3]
	v_add_f64_e64 v[25:26], v[0:1], -v[4:5]
	v_add_f64_e64 v[0:1], v[2:3], -v[6:7]
	s_wait_loadcnt 0x2
	s_delay_alu instid0(VALU_DEP_2) | instskip(NEXT) | instid1(VALU_DEP_2)
	v_fma_f64 v[2:3], v[25:26], v[13:14], v[8:9]
	v_fma_f64 v[4:5], v[23:24], v[13:14], v[0:1]
	v_fma_f64 v[6:7], -v[25:26], v[13:14], v[8:9]
	v_fma_f64 v[8:9], v[23:24], v[13:14], -v[0:1]
	s_delay_alu instid0(VALU_DEP_4) | instskip(NEXT) | instid1(VALU_DEP_4)
	v_fma_f64 v[0:1], -v[23:24], v[11:12], v[2:3]
	v_fma_f64 v[2:3], v[25:26], v[11:12], v[4:5]
	s_delay_alu instid0(VALU_DEP_4) | instskip(NEXT) | instid1(VALU_DEP_4)
	v_fma_f64 v[4:5], v[23:24], v[11:12], v[6:7]
	v_fma_f64 v[6:7], v[25:26], v[11:12], v[8:9]
	ds_store_b128 v84, v[0:3] offset:5632
	ds_store_b128 v10, v[4:7] offset:22528
	ds_load_b128 v[0:3], v84 offset:8448
	ds_load_b128 v[4:7], v10 offset:19712
	s_wait_dscnt 0x0
	v_add_f64_e32 v[8:9], v[0:1], v[4:5]
	v_add_f64_e32 v[11:12], v[6:7], v[2:3]
	v_add_f64_e64 v[13:14], v[0:1], -v[4:5]
	v_add_f64_e64 v[0:1], v[2:3], -v[6:7]
	s_wait_loadcnt 0x1
	s_delay_alu instid0(VALU_DEP_2) | instskip(NEXT) | instid1(VALU_DEP_2)
	v_fma_f64 v[2:3], v[13:14], v[21:22], v[8:9]
	v_fma_f64 v[4:5], v[11:12], v[21:22], v[0:1]
	v_fma_f64 v[6:7], -v[13:14], v[21:22], v[8:9]
	v_fma_f64 v[8:9], v[11:12], v[21:22], -v[0:1]
	s_delay_alu instid0(VALU_DEP_4) | instskip(NEXT) | instid1(VALU_DEP_4)
	v_fma_f64 v[0:1], -v[11:12], v[19:20], v[2:3]
	v_fma_f64 v[2:3], v[13:14], v[19:20], v[4:5]
	s_delay_alu instid0(VALU_DEP_4) | instskip(NEXT) | instid1(VALU_DEP_4)
	v_fma_f64 v[4:5], v[11:12], v[19:20], v[6:7]
	v_fma_f64 v[6:7], v[13:14], v[19:20], v[8:9]
	ds_store_b128 v84, v[0:3] offset:8448
	ds_store_b128 v10, v[4:7] offset:19712
	ds_load_b128 v[0:3], v84 offset:11264
	ds_load_b128 v[4:7], v10 offset:16896
	s_wait_dscnt 0x0
	v_add_f64_e32 v[8:9], v[0:1], v[4:5]
	v_add_f64_e32 v[11:12], v[6:7], v[2:3]
	v_add_f64_e64 v[13:14], v[0:1], -v[4:5]
	v_add_f64_e64 v[0:1], v[2:3], -v[6:7]
	s_wait_loadcnt 0x0
	s_delay_alu instid0(VALU_DEP_2) | instskip(NEXT) | instid1(VALU_DEP_2)
	v_fma_f64 v[2:3], v[13:14], v[17:18], v[8:9]
	v_fma_f64 v[4:5], v[11:12], v[17:18], v[0:1]
	v_fma_f64 v[6:7], -v[13:14], v[17:18], v[8:9]
	v_fma_f64 v[8:9], v[11:12], v[17:18], -v[0:1]
	s_delay_alu instid0(VALU_DEP_4) | instskip(NEXT) | instid1(VALU_DEP_4)
	v_fma_f64 v[0:1], -v[11:12], v[15:16], v[2:3]
	v_fma_f64 v[2:3], v[13:14], v[15:16], v[4:5]
	s_delay_alu instid0(VALU_DEP_4) | instskip(NEXT) | instid1(VALU_DEP_4)
	v_fma_f64 v[4:5], v[11:12], v[15:16], v[6:7]
	v_fma_f64 v[6:7], v[13:14], v[15:16], v[8:9]
	ds_store_b128 v84, v[0:3] offset:11264
	ds_store_b128 v10, v[4:7] offset:16896
	global_wb scope:SCOPE_SE
	s_wait_dscnt 0x0
	s_barrier_signal -1
	s_barrier_wait -1
	global_inv scope:SCOPE_SE
	global_wb scope:SCOPE_SE
	s_barrier_signal -1
	s_barrier_wait -1
	global_inv scope:SCOPE_SE
	ds_load_b128 v[0:3], v84 offset:14080
	ds_load_b128 v[4:7], v84
	ds_load_b128 v[8:11], v84 offset:2816
	ds_load_b128 v[12:15], v84 offset:16896
	ds_load_b128 v[16:19], v84 offset:19712
	ds_load_b128 v[20:23], v84 offset:5632
	ds_load_b128 v[24:27], v84 offset:8448
	ds_load_b128 v[28:31], v84 offset:22528
	ds_load_b128 v[32:35], v84 offset:11264
	ds_load_b128 v[36:39], v84 offset:25344
	global_wb scope:SCOPE_SE
	s_wait_dscnt 0x0
	s_barrier_signal -1
	s_barrier_wait -1
	global_inv scope:SCOPE_SE
	v_add_f64_e64 v[0:1], v[4:5], -v[0:1]
	v_add_f64_e64 v[2:3], v[6:7], -v[2:3]
	;; [unrolled: 1-line block ×10, first 2 shown]
	v_fma_f64 v[4:5], v[4:5], 2.0, -v[0:1]
	v_fma_f64 v[6:7], v[6:7], 2.0, -v[2:3]
	;; [unrolled: 1-line block ×10, first 2 shown]
	ds_store_b128 v40, v[4:7]
	ds_store_b128 v40, v[0:3] offset:16
	ds_store_b128 v41, v[8:11]
	ds_store_b128 v41, v[12:15] offset:16
	;; [unrolled: 2-line block ×5, first 2 shown]
	global_wb scope:SCOPE_SE
	s_wait_dscnt 0x0
	s_barrier_signal -1
	s_barrier_wait -1
	global_inv scope:SCOPE_SE
	global_load_b128 v[0:3], v45, s[4:5]
	ds_load_b128 v[4:7], v84 offset:14080
	ds_load_b128 v[8:11], v84 offset:16896
	;; [unrolled: 1-line block ×6, first 2 shown]
	s_wait_loadcnt_dscnt 0x5
	v_mul_f64_e32 v[28:29], v[6:7], v[2:3]
	v_mul_f64_e32 v[30:31], v[4:5], v[2:3]
	s_wait_dscnt 0x4
	v_mul_f64_e32 v[32:33], v[10:11], v[2:3]
	v_mul_f64_e32 v[34:35], v[8:9], v[2:3]
	s_wait_dscnt 0x3
	;; [unrolled: 3-line block ×4, first 2 shown]
	v_mul_f64_e32 v[44:45], v[22:23], v[2:3]
	v_mul_f64_e32 v[2:3], v[20:21], v[2:3]
	v_fma_f64 v[28:29], v[4:5], v[0:1], -v[28:29]
	v_fma_f64 v[30:31], v[6:7], v[0:1], v[30:31]
	v_fma_f64 v[32:33], v[8:9], v[0:1], -v[32:33]
	v_fma_f64 v[34:35], v[10:11], v[0:1], v[34:35]
	;; [unrolled: 2-line block ×5, first 2 shown]
	ds_load_b128 v[0:3], v84
	ds_load_b128 v[4:7], v84 offset:2816
	ds_load_b128 v[8:11], v84 offset:5632
	;; [unrolled: 1-line block ×3, first 2 shown]
	global_wb scope:SCOPE_SE
	s_wait_dscnt 0x0
	s_barrier_signal -1
	s_barrier_wait -1
	global_inv scope:SCOPE_SE
	v_add_f64_e64 v[16:17], v[0:1], -v[28:29]
	v_add_f64_e64 v[18:19], v[2:3], -v[30:31]
	;; [unrolled: 1-line block ×10, first 2 shown]
	v_lshlrev_b32_e32 v36, 1, v80
	v_lshlrev_b32_e32 v37, 1, v81
	;; [unrolled: 1-line block ×5, first 2 shown]
	v_and_or_b32 v45, 0x1fc, v36, v51
	v_and_or_b32 v47, 0x3fc, v37, v51
	;; [unrolled: 1-line block ×3, first 2 shown]
	v_lshlrev_b32_e32 v46, 4, v53
	v_and_or_b32 v49, 0x7fc, v39, v51
	v_and_or_b32 v50, 0x7fc, v44, v51
	v_lshl_add_u32 v45, v45, 4, 0
	v_lshl_add_u32 v47, v47, 4, 0
	v_lshl_add_u32 v48, v48, 4, 0
	v_lshl_add_u32 v49, v49, 4, 0
	v_lshl_add_u32 v50, v50, 4, 0
	v_fma_f64 v[0:1], v[0:1], 2.0, -v[16:17]
	v_fma_f64 v[2:3], v[2:3], 2.0, -v[18:19]
	;; [unrolled: 1-line block ×10, first 2 shown]
	ds_store_b128 v45, v[0:3]
	ds_store_b128 v45, v[16:19] offset:32
	ds_store_b128 v47, v[4:7]
	ds_store_b128 v47, v[20:23] offset:32
	ds_store_b128 v48, v[8:11]
	ds_store_b128 v48, v[28:31] offset:32
	ds_store_b128 v49, v[12:15]
	ds_store_b128 v49, v[32:35] offset:32
	ds_store_b128 v50, v[24:27]
	ds_store_b128 v50, v[40:43] offset:32
	global_wb scope:SCOPE_SE
	s_wait_dscnt 0x0
	s_barrier_signal -1
	s_barrier_wait -1
	global_inv scope:SCOPE_SE
	global_load_b128 v[0:3], v46, s[4:5] offset:32
	ds_load_b128 v[4:7], v84 offset:14080
	ds_load_b128 v[8:11], v84 offset:16896
	;; [unrolled: 1-line block ×6, first 2 shown]
	s_wait_loadcnt_dscnt 0x5
	v_mul_f64_e32 v[28:29], v[6:7], v[2:3]
	v_mul_f64_e32 v[30:31], v[4:5], v[2:3]
	s_wait_dscnt 0x4
	v_mul_f64_e32 v[32:33], v[10:11], v[2:3]
	v_mul_f64_e32 v[34:35], v[8:9], v[2:3]
	s_wait_dscnt 0x3
	;; [unrolled: 3-line block ×4, first 2 shown]
	v_mul_f64_e32 v[49:50], v[22:23], v[2:3]
	v_mul_f64_e32 v[2:3], v[20:21], v[2:3]
	v_fma_f64 v[28:29], v[4:5], v[0:1], -v[28:29]
	v_fma_f64 v[30:31], v[6:7], v[0:1], v[30:31]
	v_fma_f64 v[32:33], v[8:9], v[0:1], -v[32:33]
	v_fma_f64 v[34:35], v[10:11], v[0:1], v[34:35]
	;; [unrolled: 2-line block ×5, first 2 shown]
	ds_load_b128 v[0:3], v84
	ds_load_b128 v[4:7], v84 offset:2816
	ds_load_b128 v[8:11], v84 offset:5632
	;; [unrolled: 1-line block ×3, first 2 shown]
	global_wb scope:SCOPE_SE
	s_wait_dscnt 0x0
	s_barrier_signal -1
	s_barrier_wait -1
	global_inv scope:SCOPE_SE
	v_add_f64_e64 v[16:17], v[0:1], -v[28:29]
	v_add_f64_e64 v[18:19], v[2:3], -v[30:31]
	;; [unrolled: 1-line block ×10, first 2 shown]
	v_and_or_b32 v45, 0x1f8, v36, v53
	v_and_or_b32 v47, 0x3f8, v37, v53
	;; [unrolled: 1-line block ×3, first 2 shown]
	v_lshlrev_b32_e32 v46, 4, v54
	v_and_or_b32 v49, 0x7f8, v39, v53
	v_and_or_b32 v50, 0x7f8, v44, v53
	v_lshl_add_u32 v45, v45, 4, 0
	v_lshl_add_u32 v47, v47, 4, 0
	;; [unrolled: 1-line block ×5, first 2 shown]
	v_and_b32_e32 v53, 15, v80
	v_fma_f64 v[0:1], v[0:1], 2.0, -v[16:17]
	v_fma_f64 v[2:3], v[2:3], 2.0, -v[18:19]
	;; [unrolled: 1-line block ×10, first 2 shown]
	ds_store_b128 v45, v[0:3]
	ds_store_b128 v45, v[16:19] offset:64
	ds_store_b128 v47, v[4:7]
	ds_store_b128 v47, v[20:23] offset:64
	;; [unrolled: 2-line block ×5, first 2 shown]
	global_wb scope:SCOPE_SE
	s_wait_dscnt 0x0
	s_barrier_signal -1
	s_barrier_wait -1
	global_inv scope:SCOPE_SE
	global_load_b128 v[0:3], v46, s[4:5] offset:96
	ds_load_b128 v[4:7], v84 offset:14080
	ds_load_b128 v[8:11], v84 offset:16896
	;; [unrolled: 1-line block ×6, first 2 shown]
	s_wait_loadcnt_dscnt 0x5
	v_mul_f64_e32 v[28:29], v[6:7], v[2:3]
	v_mul_f64_e32 v[30:31], v[4:5], v[2:3]
	s_wait_dscnt 0x4
	v_mul_f64_e32 v[32:33], v[10:11], v[2:3]
	v_mul_f64_e32 v[34:35], v[8:9], v[2:3]
	s_wait_dscnt 0x3
	;; [unrolled: 3-line block ×4, first 2 shown]
	v_mul_f64_e32 v[49:50], v[22:23], v[2:3]
	v_mul_f64_e32 v[2:3], v[20:21], v[2:3]
	v_fma_f64 v[28:29], v[4:5], v[0:1], -v[28:29]
	v_fma_f64 v[30:31], v[6:7], v[0:1], v[30:31]
	v_fma_f64 v[32:33], v[8:9], v[0:1], -v[32:33]
	v_fma_f64 v[34:35], v[10:11], v[0:1], v[34:35]
	;; [unrolled: 2-line block ×5, first 2 shown]
	ds_load_b128 v[0:3], v84
	ds_load_b128 v[4:7], v84 offset:2816
	ds_load_b128 v[8:11], v84 offset:5632
	;; [unrolled: 1-line block ×3, first 2 shown]
	global_wb scope:SCOPE_SE
	s_wait_dscnt 0x0
	s_barrier_signal -1
	s_barrier_wait -1
	global_inv scope:SCOPE_SE
	v_add_f64_e64 v[16:17], v[0:1], -v[28:29]
	v_add_f64_e64 v[18:19], v[2:3], -v[30:31]
	;; [unrolled: 1-line block ×10, first 2 shown]
	v_and_or_b32 v45, 0x1f0, v36, v54
	v_and_or_b32 v47, 0x3f0, v37, v54
	;; [unrolled: 1-line block ×3, first 2 shown]
	v_lshlrev_b32_e32 v46, 4, v53
	v_and_or_b32 v49, 0x7f0, v39, v54
	v_and_or_b32 v50, 0x7f0, v44, v54
	v_lshl_add_u32 v45, v45, 4, 0
	v_lshl_add_u32 v47, v47, 4, 0
	;; [unrolled: 1-line block ×5, first 2 shown]
	v_and_or_b32 v36, 0x1e0, v36, v53
	v_and_or_b32 v37, 0x3e0, v37, v53
	;; [unrolled: 1-line block ×5, first 2 shown]
	v_lshl_add_u32 v36, v36, 4, 0
	v_lshl_add_u32 v37, v37, 4, 0
	;; [unrolled: 1-line block ×5, first 2 shown]
	v_fma_f64 v[0:1], v[0:1], 2.0, -v[16:17]
	v_fma_f64 v[2:3], v[2:3], 2.0, -v[18:19]
	v_fma_f64 v[4:5], v[4:5], 2.0, -v[20:21]
	v_fma_f64 v[6:7], v[6:7], 2.0, -v[22:23]
	v_fma_f64 v[8:9], v[8:9], 2.0, -v[28:29]
	v_fma_f64 v[10:11], v[10:11], 2.0, -v[30:31]
	v_fma_f64 v[12:13], v[12:13], 2.0, -v[32:33]
	v_fma_f64 v[14:15], v[14:15], 2.0, -v[34:35]
	v_fma_f64 v[24:25], v[24:25], 2.0, -v[40:41]
	v_fma_f64 v[26:27], v[26:27], 2.0, -v[42:43]
	ds_store_b128 v45, v[0:3]
	ds_store_b128 v45, v[16:19] offset:128
	ds_store_b128 v47, v[4:7]
	ds_store_b128 v47, v[20:23] offset:128
	;; [unrolled: 2-line block ×5, first 2 shown]
	global_wb scope:SCOPE_SE
	s_wait_dscnt 0x0
	s_barrier_signal -1
	s_barrier_wait -1
	global_inv scope:SCOPE_SE
	global_load_b128 v[0:3], v46, s[4:5] offset:224
	ds_load_b128 v[4:7], v84 offset:14080
	ds_load_b128 v[8:11], v84 offset:16896
	;; [unrolled: 1-line block ×6, first 2 shown]
	s_wait_loadcnt_dscnt 0x5
	v_mul_f64_e32 v[24:25], v[6:7], v[2:3]
	v_mul_f64_e32 v[26:27], v[4:5], v[2:3]
	s_wait_dscnt 0x4
	v_mul_f64_e32 v[28:29], v[10:11], v[2:3]
	v_mul_f64_e32 v[30:31], v[8:9], v[2:3]
	s_wait_dscnt 0x3
	v_mul_f64_e32 v[40:41], v[14:15], v[2:3]
	v_mul_f64_e32 v[42:43], v[12:13], v[2:3]
	s_wait_dscnt 0x2
	v_mul_f64_e32 v[45:46], v[18:19], v[2:3]
	v_mul_f64_e32 v[47:48], v[16:17], v[2:3]
	s_wait_dscnt 0x1
	v_mul_f64_e32 v[49:50], v[22:23], v[2:3]
	v_mul_f64_e32 v[2:3], v[20:21], v[2:3]
	v_fma_f64 v[4:5], v[4:5], v[0:1], -v[24:25]
	v_fma_f64 v[6:7], v[6:7], v[0:1], v[26:27]
	v_fma_f64 v[8:9], v[8:9], v[0:1], -v[28:29]
	v_fma_f64 v[10:11], v[10:11], v[0:1], v[30:31]
	v_fma_f64 v[28:29], v[12:13], v[0:1], -v[40:41]
	v_fma_f64 v[30:31], v[14:15], v[0:1], v[42:43]
	v_fma_f64 v[45:46], v[16:17], v[0:1], -v[45:46]
	v_fma_f64 v[47:48], v[18:19], v[0:1], v[47:48]
	v_fma_f64 v[49:50], v[20:21], v[0:1], -v[49:50]
	v_fma_f64 v[51:52], v[22:23], v[0:1], v[2:3]
	ds_load_b128 v[0:3], v84
	ds_load_b128 v[12:15], v84 offset:2816
	ds_load_b128 v[16:19], v84 offset:5632
	ds_load_b128 v[24:27], v84 offset:8448
	global_wb scope:SCOPE_SE
	s_wait_dscnt 0x0
	s_barrier_signal -1
	s_barrier_wait -1
	global_inv scope:SCOPE_SE
	v_add_f64_e64 v[40:41], v[0:1], -v[4:5]
	v_add_f64_e64 v[42:43], v[2:3], -v[6:7]
	;; [unrolled: 1-line block ×10, first 2 shown]
	v_fma_f64 v[0:1], v[0:1], 2.0, -v[40:41]
	v_fma_f64 v[2:3], v[2:3], 2.0, -v[42:43]
	;; [unrolled: 1-line block ×10, first 2 shown]
	ds_store_b128 v36, v[0:3]
	ds_store_b128 v36, v[40:43] offset:256
	ds_store_b128 v37, v[12:15]
	ds_store_b128 v37, v[4:7] offset:256
	;; [unrolled: 2-line block ×5, first 2 shown]
	global_wb scope:SCOPE_SE
	s_wait_dscnt 0x0
	s_barrier_signal -1
	s_barrier_wait -1
	global_inv scope:SCOPE_SE
                                        ; implicit-def: $vgpr38_vgpr39
	s_and_saveexec_b32 s1, s0
	s_cbranch_execz .LBB0_19
; %bb.18:
	ds_load_b128 v[0:3], v84
	ds_load_b128 v[40:43], v84 offset:2560
	ds_load_b128 v[12:15], v84 offset:5120
	;; [unrolled: 1-line block ×10, first 2 shown]
.LBB0_19:
	s_wait_alu 0xfffe
	s_or_b32 exec_lo, exec_lo, s1
	global_wb scope:SCOPE_SE
	s_wait_dscnt 0x0
	s_barrier_signal -1
	s_barrier_wait -1
	global_inv scope:SCOPE_SE
	s_and_saveexec_b32 s33, s0
	s_cbranch_execz .LBB0_21
; %bb.20:
	v_and_b32_e32 v85, 31, v80
	s_mov_b32 s2, 0xd9c712b6
	s_mov_b32 s10, 0x8eee2c13
	;; [unrolled: 1-line block ×4, first 2 shown]
	v_mul_u32_u24_e32 v44, 10, v85
	s_mov_b32 s16, 0x9bcd5057
	s_mov_b32 s20, 0xfd768dbf
	;; [unrolled: 1-line block ×4, first 2 shown]
	v_lshlrev_b32_e32 v72, 4, v44
	s_mov_b32 s3, 0x3fda9628
	s_mov_b32 s11, 0xbfed1bb4
	;; [unrolled: 1-line block ×4, first 2 shown]
	s_clause 0x9
	global_load_b128 v[86:89], v72, s[4:5] offset:480
	global_load_b128 v[76:79], v72, s[4:5] offset:496
	;; [unrolled: 1-line block ×10, first 2 shown]
	s_mov_b32 s17, 0xbfeeb42a
	s_mov_b32 s21, 0x3fd207e7
	;; [unrolled: 1-line block ×4, first 2 shown]
	s_wait_alu 0xfffe
	s_mov_b32 s24, s18
	s_mov_b32 s22, s20
	;; [unrolled: 1-line block ×13, first 2 shown]
	s_wait_alu 0xfffe
	s_mov_b32 s28, s26
	s_wait_loadcnt 0x9
	v_mul_f64_e32 v[90:91], v[40:41], v[88:89]
	v_mul_f64_e32 v[88:89], v[42:43], v[88:89]
	s_wait_loadcnt 0x8
	v_mul_f64_e32 v[92:93], v[12:13], v[78:79]
	v_mul_f64_e32 v[78:79], v[14:15], v[78:79]
	;; [unrolled: 3-line block ×3, first 2 shown]
	s_wait_loadcnt 0x5
	v_mul_f64_e32 v[96:97], v[24:25], v[62:63]
	s_wait_loadcnt 0x2
	v_mul_f64_e32 v[98:99], v[4:5], v[54:55]
	;; [unrolled: 2-line block ×3, first 2 shown]
	v_mul_f64_e32 v[54:55], v[6:7], v[54:55]
	s_wait_loadcnt 0x0
	v_mul_f64_e32 v[102:103], v[28:29], v[74:75]
	v_mul_f64_e32 v[46:47], v[34:35], v[46:47]
	;; [unrolled: 1-line block ×4, first 2 shown]
	v_fma_f64 v[42:43], v[42:43], v[86:87], v[90:91]
	v_fma_f64 v[40:41], v[40:41], v[86:87], -v[88:89]
	v_mul_f64_e32 v[90:91], v[36:37], v[66:67]
	v_mul_f64_e32 v[86:87], v[16:17], v[50:51]
	;; [unrolled: 1-line block ×6, first 2 shown]
	v_fma_f64 v[92:93], v[14:15], v[76:77], v[92:93]
	v_fma_f64 v[76:77], v[12:13], v[76:77], -v[78:79]
	v_fma_f64 v[26:27], v[26:27], v[60:61], v[96:97]
	v_fma_f64 v[12:13], v[32:33], v[44:45], -v[46:47]
	v_fma_f64 v[24:25], v[24:25], v[60:61], -v[62:63]
	v_add_f64_e32 v[104:105], v[2:3], v[42:43]
	v_add_f64_e32 v[78:79], v[0:1], v[40:41]
	v_fma_f64 v[14:15], v[38:39], v[64:65], v[90:91]
	v_fma_f64 v[38:39], v[10:11], v[68:69], v[94:95]
	;; [unrolled: 1-line block ×4, first 2 shown]
	v_fma_f64 v[22:23], v[8:9], v[68:69], -v[70:71]
	v_fma_f64 v[8:9], v[36:37], v[64:65], -v[66:67]
	v_fma_f64 v[36:37], v[6:7], v[52:53], v[98:99]
	v_fma_f64 v[10:11], v[34:35], v[44:45], v[100:101]
	v_fma_f64 v[34:35], v[16:17], v[48:49], -v[50:51]
	v_fma_f64 v[16:17], v[20:21], v[56:57], -v[58:59]
	;; [unrolled: 1-line block ×4, first 2 shown]
	v_fma_f64 v[4:5], v[30:31], v[72:73], v[102:103]
	v_add_f64_e32 v[28:29], v[104:105], v[92:93]
	v_add_f64_e32 v[44:45], v[78:79], v[76:77]
	;; [unrolled: 1-line block ×3, first 2 shown]
	v_add_f64_e64 v[32:33], v[42:43], -v[14:15]
	v_add_f64_e32 v[42:43], v[38:39], v[26:27]
	v_add_f64_e32 v[46:47], v[86:87], v[18:19]
	v_add_f64_e64 v[72:73], v[86:87], -v[18:19]
	v_add_f64_e64 v[50:51], v[40:41], -v[8:9]
	v_add_f64_e32 v[40:41], v[40:41], v[8:9]
	v_add_f64_e32 v[48:49], v[36:37], v[10:11]
	v_add_f64_e64 v[66:67], v[36:37], -v[10:11]
	v_add_f64_e64 v[54:55], v[34:35], -v[16:17]
	;; [unrolled: 1-line block ×4, first 2 shown]
	v_add_f64_e32 v[56:57], v[92:93], v[4:5]
	v_add_f64_e64 v[62:63], v[92:93], -v[4:5]
	v_add_f64_e32 v[64:65], v[76:77], v[6:7]
	v_add_f64_e32 v[74:75], v[34:35], v[16:17]
	v_add_f64_e64 v[52:53], v[22:23], -v[24:25]
	v_add_f64_e64 v[68:69], v[38:39], -v[26:27]
	v_add_f64_e32 v[70:71], v[22:23], v[24:25]
	v_add_f64_e32 v[28:29], v[28:29], v[36:37]
	;; [unrolled: 1-line block ×4, first 2 shown]
	v_mul_f64_e32 v[76:77], s[16:17], v[30:31]
	v_mul_f64_e32 v[78:79], s[22:23], v[32:33]
	;; [unrolled: 1-line block ×35, first 2 shown]
	v_add_f64_e32 v[28:29], v[28:29], v[86:87]
	v_mul_f64_e32 v[86:87], s[6:7], v[62:63]
	v_add_f64_e32 v[20:21], v[20:21], v[34:35]
	v_mul_f64_e32 v[62:63], s[10:11], v[62:63]
	v_fma_f64 v[154:155], v[50:51], s[20:21], v[76:77]
	v_fma_f64 v[34:35], v[40:41], s[16:17], v[78:79]
	v_fma_f64 v[78:79], v[40:41], s[16:17], -v[78:79]
	v_fma_f64 v[156:157], v[50:51], s[18:19], v[88:89]
	v_fma_f64 v[158:159], v[40:41], s[12:13], v[90:91]
	;; [unrolled: 1-line block ×6, first 2 shown]
	v_fma_f64 v[98:99], v[40:41], s[2:3], -v[98:99]
	v_fma_f64 v[76:77], v[50:51], s[22:23], v[76:77]
	v_fma_f64 v[90:91], v[40:41], s[12:13], -v[90:91]
	v_fma_f64 v[160:161], v[50:51], s[6:7], v[92:93]
	v_fma_f64 v[162:163], v[40:41], s[0:1], v[94:95]
	v_fma_f64 v[92:93], v[50:51], s[30:31], v[92:93]
	v_fma_f64 v[94:95], v[40:41], s[0:1], -v[94:95]
	v_fma_f64 v[168:169], v[50:51], s[28:29], v[30:31]
	v_fma_f64 v[30:31], v[50:51], s[26:27], v[30:31]
	;; [unrolled: 4-line block ×3, first 2 shown]
	v_fma_f64 v[118:119], v[58:59], s[34:35], v[118:119]
	v_fma_f64 v[172:173], v[58:59], s[22:23], v[120:121]
	;; [unrolled: 1-line block ×11, first 2 shown]
	v_fma_f64 v[132:133], v[64:65], s[16:17], -v[132:133]
	v_add_f64_e32 v[28:29], v[28:29], v[38:39]
	v_fma_f64 v[38:39], v[58:59], s[24:25], v[114:115]
	v_add_f64_e32 v[20:21], v[20:21], v[22:23]
	v_fma_f64 v[114:115], v[58:59], s[28:29], v[116:117]
	v_fma_f64 v[116:117], v[58:59], s[26:27], v[116:117]
	;; [unrolled: 1-line block ×8, first 2 shown]
	v_fma_f64 v[130:131], v[64:65], s[14:15], -v[130:131]
	v_fma_f64 v[182:183], v[64:65], s[0:1], v[86:87]
	v_fma_f64 v[86:87], v[64:65], s[0:1], -v[86:87]
	v_add_f64_e32 v[154:155], v[2:3], v[154:155]
	v_add_f64_e32 v[34:35], v[0:1], v[34:35]
	v_fma_f64 v[186:187], v[64:65], s[12:13], v[134:135]
	v_fma_f64 v[134:135], v[64:65], s[12:13], -v[134:135]
	v_fma_f64 v[188:189], v[64:65], s[2:3], v[62:63]
	v_fma_f64 v[62:63], v[64:65], s[2:3], -v[62:63]
	v_add_f64_e32 v[64:65], v[0:1], v[78:79]
	v_add_f64_e32 v[156:157], v[2:3], v[156:157]
	;; [unrolled: 1-line block ×19, first 2 shown]
	v_mul_f64_e32 v[148:149], s[26:27], v[72:73]
	v_add_f64_e32 v[20:21], v[20:21], v[24:25]
	v_mul_f64_e32 v[150:151], s[6:7], v[72:73]
	v_mul_f64_e32 v[72:73], s[24:25], v[72:73]
	v_fma_f64 v[78:79], v[36:37], s[12:13], v[136:137]
	v_fma_f64 v[136:137], v[36:37], s[12:13], -v[136:137]
	v_fma_f64 v[28:29], v[36:37], s[14:15], v[138:139]
	v_fma_f64 v[24:25], v[36:37], s[2:3], v[140:141]
	v_fma_f64 v[32:33], v[36:37], s[2:3], -v[140:141]
	v_fma_f64 v[140:141], v[36:37], s[16:17], -v[142:143]
	;; [unrolled: 1-line block ×3, first 2 shown]
	v_fma_f64 v[50:51], v[36:37], s[16:17], v[142:143]
	v_fma_f64 v[142:143], v[36:37], s[0:1], v[66:67]
	v_add_f64_e32 v[58:59], v[58:59], v[154:155]
	v_add_f64_e32 v[34:35], v[60:61], v[34:35]
	v_fma_f64 v[36:37], v[36:37], s[0:1], -v[66:67]
	v_mul_f64_e32 v[100:101], s[0:1], v[42:43]
	v_mul_f64_e32 v[44:45], s[2:3], v[42:43]
	;; [unrolled: 1-line block ×3, first 2 shown]
	v_add_f64_e32 v[64:65], v[130:131], v[64:65]
	v_add_f64_e32 v[156:157], v[176:177], v[156:157]
	;; [unrolled: 1-line block ×19, first 2 shown]
	v_mul_f64_e32 v[104:105], s[14:15], v[42:43]
	v_add_f64_e32 v[16:17], v[20:21], v[16:17]
	v_mul_f64_e32 v[42:43], s[16:17], v[42:43]
	v_mul_f64_e32 v[66:67], s[34:35], v[68:69]
	v_mul_f64_e32 v[60:61], s[28:29], v[68:69]
	v_fma_f64 v[176:177], v[54:55], s[10:11], v[106:107]
	v_fma_f64 v[106:107], v[54:55], s[34:35], v[106:107]
	;; [unrolled: 1-line block ×11, first 2 shown]
	v_fma_f64 v[112:113], v[74:75], s[2:3], -v[144:145]
	v_fma_f64 v[132:133], v[74:75], s[16:17], v[146:147]
	v_fma_f64 v[134:135], v[74:75], s[16:17], -v[146:147]
	v_fma_f64 v[144:145], v[74:75], s[14:15], v[148:149]
	;; [unrolled: 2-line block ×4, first 2 shown]
	v_fma_f64 v[72:73], v[74:75], s[12:13], -v[72:73]
	v_add_f64_e32 v[40:41], v[40:41], v[58:59]
	v_add_f64_e32 v[34:35], v[78:79], v[34:35]
	;; [unrolled: 1-line block ×8, first 2 shown]
	v_mul_f64_e32 v[154:155], s[24:25], v[68:69]
	v_add_f64_e32 v[38:39], v[38:39], v[76:77]
	v_add_f64_e32 v[76:77], v[138:139], v[86:87]
	;; [unrolled: 1-line block ×4, first 2 shown]
	v_mul_f64_e32 v[152:153], s[30:31], v[68:69]
	v_mul_f64_e32 v[68:69], s[22:23], v[68:69]
	v_add_f64_e32 v[78:79], v[170:171], v[90:91]
	v_add_f64_e32 v[24:25], v[24:25], v[98:99]
	;; [unrolled: 1-line block ×10, first 2 shown]
	v_fma_f64 v[122:123], v[52:53], s[6:7], v[100:101]
	v_fma_f64 v[100:101], v[52:53], s[30:31], v[100:101]
	;; [unrolled: 1-line block ×12, first 2 shown]
	v_fma_f64 v[60:61], v[70:71], s[14:15], -v[60:61]
	v_fma_f64 v[66:67], v[70:71], s[2:3], -v[66:67]
	v_add_f64_e32 v[34:35], v[54:55], v[34:35]
	v_add_f64_e32 v[54:55], v[112:113], v[58:59]
	;; [unrolled: 1-line block ×7, first 2 shown]
	v_fma_f64 v[104:105], v[70:71], s[12:13], -v[154:155]
	v_fma_f64 v[102:103], v[70:71], s[12:13], v[154:155]
	v_add_f64_e32 v[38:39], v[106:107], v[38:39]
	v_add_f64_e32 v[26:27], v[26:27], v[86:87]
	;; [unrolled: 1-line block ×3, first 2 shown]
	v_fma_f64 v[16:17], v[70:71], s[0:1], v[152:153]
	v_fma_f64 v[18:19], v[70:71], s[0:1], -v[152:153]
	v_fma_f64 v[116:117], v[70:71], s[16:17], v[68:69]
	v_fma_f64 v[68:69], v[70:71], s[16:17], -v[68:69]
	v_add_f64_e32 v[70:71], v[134:135], v[76:77]
	v_add_f64_e32 v[40:41], v[176:177], v[40:41]
	;; [unrolled: 1-line block ×34, first 2 shown]
	v_lshrrev_b32_e32 v8, 5, v80
	s_delay_alu instid0(VALU_DEP_1) | instskip(NEXT) | instid1(VALU_DEP_1)
	v_mul_u32_u24_e32 v8, 0x160, v8
	v_or_b32_e32 v8, v8, v85
	s_delay_alu instid0(VALU_DEP_1)
	v_lshl_add_u32 v8, v8, 4, 0
	ds_store_b128 v8, v[28:31] offset:1024
	ds_store_b128 v8, v[24:27] offset:1536
	;; [unrolled: 1-line block ×9, first 2 shown]
	ds_store_b128 v8, v[44:47]
	ds_store_b128 v8, v[36:39] offset:5120
.LBB0_21:
	s_or_b32 exec_lo, exec_lo, s33
	v_dual_mov_b32 v1, 0 :: v_dual_lshlrev_b32 v0, 2, v80
	global_wb scope:SCOPE_SE
	s_wait_dscnt 0x0
	s_barrier_signal -1
	s_barrier_wait -1
	global_inv scope:SCOPE_SE
	v_lshlrev_b64_e32 v[2:3], 4, v[0:1]
	v_lshlrev_b32_e32 v0, 2, v81
	s_mov_b32 s3, 0xbfee6f0e
	s_delay_alu instid0(VALU_DEP_1) | instskip(NEXT) | instid1(VALU_DEP_3)
	v_lshlrev_b64_e32 v[10:11], 4, v[0:1]
	v_add_co_u32 v14, s0, s4, v2
	s_wait_alu 0xf1ff
	v_add_co_ci_u32_e64 v15, s0, s5, v3, s0
	s_clause 0x1
	global_load_b128 v[2:5], v[14:15], off offset:5616
	global_load_b128 v[6:9], v[14:15], off offset:5600
	v_add_co_u32 v30, s0, s4, v10
	s_wait_alu 0xf1ff
	v_add_co_ci_u32_e64 v31, s0, s5, v11, s0
	s_clause 0x5
	global_load_b128 v[10:13], v[14:15], off offset:5632
	global_load_b128 v[14:17], v[14:15], off offset:5648
	;; [unrolled: 1-line block ×6, first 2 shown]
	ds_load_b128 v[34:37], v84 offset:5632
	ds_load_b128 v[38:41], v84 offset:11264
	;; [unrolled: 1-line block ×8, first 2 shown]
	s_mov_b32 s0, 0x134454ff
	s_mov_b32 s1, 0x3fee6f0e
	s_wait_alu 0xfffe
	s_mov_b32 s2, s0
	s_wait_loadcnt_dscnt 0x706
	v_mul_f64_e32 v[68:69], v[40:41], v[4:5]
	v_mul_f64_e32 v[4:5], v[38:39], v[4:5]
	s_wait_loadcnt_dscnt 0x505
	v_mul_f64_e32 v[70:71], v[44:45], v[12:13]
	v_mul_f64_e32 v[12:13], v[42:43], v[12:13]
	;; [unrolled: 1-line block ×3, first 2 shown]
	s_wait_loadcnt_dscnt 0x404
	v_mul_f64_e32 v[72:73], v[48:49], v[16:17]
	s_wait_loadcnt_dscnt 0x202
	v_mul_f64_e32 v[76:77], v[56:57], v[24:25]
	v_mul_f64_e32 v[24:25], v[54:55], v[24:25]
	s_wait_loadcnt_dscnt 0x101
	v_mul_f64_e32 v[78:79], v[60:61], v[28:29]
	v_mul_f64_e32 v[28:29], v[58:59], v[28:29]
	;; [unrolled: 1-line block ×5, first 2 shown]
	s_wait_loadcnt_dscnt 0x0
	v_mul_f64_e32 v[85:86], v[64:65], v[32:33]
	v_mul_f64_e32 v[20:21], v[50:51], v[20:21]
	;; [unrolled: 1-line block ×3, first 2 shown]
	v_fma_f64 v[38:39], v[38:39], v[2:3], -v[68:69]
	v_fma_f64 v[40:41], v[40:41], v[2:3], v[4:5]
	v_fma_f64 v[42:43], v[42:43], v[10:11], -v[70:71]
	v_fma_f64 v[10:11], v[44:45], v[10:11], v[12:13]
	v_fma_f64 v[34:35], v[34:35], v[6:7], -v[66:67]
	v_fma_f64 v[12:13], v[46:47], v[14:15], -v[72:73]
	;; [unrolled: 1-line block ×3, first 2 shown]
	v_fma_f64 v[22:23], v[56:57], v[22:23], v[24:25]
	v_fma_f64 v[24:25], v[58:59], v[26:27], -v[78:79]
	v_fma_f64 v[26:27], v[60:61], v[26:27], v[28:29]
	v_fma_f64 v[36:37], v[36:37], v[6:7], v[8:9]
	;; [unrolled: 1-line block ×3, first 2 shown]
	v_fma_f64 v[16:17], v[50:51], v[18:19], -v[74:75]
	v_fma_f64 v[46:47], v[62:63], v[30:31], -v[85:86]
	v_fma_f64 v[18:19], v[52:53], v[18:19], v[20:21]
	v_fma_f64 v[20:21], v[64:65], v[30:31], v[32:33]
	ds_load_b128 v[2:5], v84
	ds_load_b128 v[6:9], v84 offset:2816
	global_wb scope:SCOPE_SE
	s_wait_dscnt 0x0
	s_barrier_signal -1
	s_barrier_wait -1
	global_inv scope:SCOPE_SE
	v_add_f64_e32 v[28:29], v[38:39], v[42:43]
	v_add_f64_e32 v[32:33], v[40:41], v[10:11]
	v_add_f64_e32 v[58:59], v[2:3], v[34:35]
	v_add_f64_e32 v[30:31], v[34:35], v[12:13]
	v_add_f64_e64 v[66:67], v[34:35], -v[12:13]
	v_add_f64_e64 v[62:63], v[40:41], -v[10:11]
	v_add_f64_e32 v[50:51], v[44:45], v[24:25]
	v_add_f64_e32 v[54:55], v[22:23], v[26:27]
	;; [unrolled: 1-line block ×8, first 2 shown]
	v_add_f64_e64 v[60:61], v[36:37], -v[14:15]
	v_add_f64_e64 v[74:75], v[18:19], -v[20:21]
	;; [unrolled: 1-line block ×17, first 2 shown]
	v_fma_f64 v[28:29], v[28:29], -0.5, v[2:3]
	v_fma_f64 v[32:33], v[32:33], -0.5, v[4:5]
	;; [unrolled: 1-line block ×3, first 2 shown]
	v_add_f64_e64 v[30:31], v[22:23], -v[26:27]
	v_fma_f64 v[50:51], v[50:51], -0.5, v[6:7]
	v_fma_f64 v[54:55], v[54:55], -0.5, v[8:9]
	v_add_f64_e32 v[40:41], v[64:65], v[40:41]
	v_fma_f64 v[4:5], v[48:49], -0.5, v[4:5]
	v_add_f64_e64 v[48:49], v[44:45], -v[24:25]
	v_fma_f64 v[6:7], v[52:53], -0.5, v[6:7]
	v_add_f64_e64 v[52:53], v[34:35], -v[38:39]
	;; [unrolled: 2-line block ×3, first 2 shown]
	v_add_f64_e64 v[34:35], v[38:39], -v[34:35]
	v_add_f64_e32 v[38:39], v[58:59], v[38:39]
	v_add_f64_e32 v[44:45], v[70:71], v[44:45]
	v_add_f64_e32 v[22:23], v[72:73], v[22:23]
	v_add_f64_e32 v[36:37], v[36:37], v[89:90]
	v_add_f64_e32 v[89:90], v[18:19], v[101:102]
	v_fma_f64 v[58:59], v[60:61], s[0:1], v[28:29]
	s_wait_alu 0xfffe
	v_fma_f64 v[70:71], v[66:67], s[2:3], v[32:33]
	v_fma_f64 v[28:29], v[60:61], s[2:3], v[28:29]
	v_fma_f64 v[64:65], v[62:63], s[2:3], v[2:3]
	v_fma_f64 v[2:3], v[62:63], s[0:1], v[2:3]
	v_fma_f64 v[32:33], v[66:67], s[0:1], v[32:33]
	v_fma_f64 v[103:104], v[74:75], s[0:1], v[50:51]
	v_fma_f64 v[105:106], v[76:77], s[2:3], v[54:55]
	v_fma_f64 v[50:51], v[74:75], s[2:3], v[50:51]
	v_fma_f64 v[72:73], v[68:69], s[0:1], v[4:5]
	v_fma_f64 v[4:5], v[68:69], s[2:3], v[4:5]
	v_fma_f64 v[107:108], v[30:31], s[2:3], v[6:7]
	v_fma_f64 v[6:7], v[30:31], s[0:1], v[6:7]
	v_fma_f64 v[109:110], v[48:49], s[0:1], v[8:9]
	v_fma_f64 v[8:9], v[48:49], s[2:3], v[8:9]
	v_fma_f64 v[54:55], v[76:77], s[0:1], v[54:55]
	s_mov_b32 s0, 0x4755a5e
	s_mov_b32 s1, 0x3fe2cf23
	s_mov_b32 s3, 0xbfe2cf23
	s_wait_alu 0xfffe
	s_mov_b32 s2, s0
	v_add_f64_e32 v[52:53], v[52:53], v[56:57]
	v_add_f64_e32 v[56:57], v[85:86], v[87:88]
	;; [unrolled: 1-line block ×10, first 2 shown]
	v_fma_f64 v[24:25], v[62:63], s[0:1], v[58:59]
	s_wait_alu 0xfffe
	v_fma_f64 v[40:41], v[68:69], s[2:3], v[70:71]
	v_fma_f64 v[26:27], v[62:63], s[2:3], v[28:29]
	;; [unrolled: 1-line block ×15, first 2 shown]
	s_mov_b32 s0, 0x372fe950
	s_mov_b32 s1, 0x3fd3c6ef
	v_add_f64_e32 v[2:3], v[16:17], v[12:13]
	v_add_f64_e32 v[4:5], v[10:11], v[14:15]
	;; [unrolled: 1-line block ×4, first 2 shown]
	s_wait_alu 0xfffe
	v_fma_f64 v[10:11], v[52:53], s[0:1], v[24:25]
	v_fma_f64 v[12:13], v[56:57], s[0:1], v[40:41]
	;; [unrolled: 1-line block ×16, first 2 shown]
	ds_store_b128 v84, v[2:5]
	ds_store_b128 v84, v[6:9] offset:2816
	ds_store_b128 v84, v[10:13] offset:5632
	;; [unrolled: 1-line block ×9, first 2 shown]
	global_wb scope:SCOPE_SE
	s_wait_dscnt 0x0
	s_barrier_signal -1
	s_barrier_wait -1
	global_inv scope:SCOPE_SE
	s_and_saveexec_b32 s0, vcc_lo
	s_cbranch_execz .LBB0_23
; %bb.22:
	v_dual_mov_b32 v81, v1 :: v_dual_add_nc_u32 v0, 0xb0, v80
	v_add_co_u32 v37, vcc_lo, s8, v82
	v_lshl_add_u32 v36, v80, 4, 0
	s_delay_alu instid0(VALU_DEP_3) | instskip(SKIP_4) | instid1(VALU_DEP_4)
	v_lshlrev_b64_e32 v[2:3], 4, v[80:81]
	s_wait_alu 0xfffd
	v_add_co_ci_u32_e32 v38, vcc_lo, s9, v83, vcc_lo
	v_lshlrev_b64_e32 v[18:19], 4, v[0:1]
	v_add_nc_u32_e32 v0, 0x160, v80
	v_add_co_u32 v20, vcc_lo, v37, v2
	s_wait_alu 0xfffd
	v_add_co_ci_u32_e32 v21, vcc_lo, v38, v3, vcc_lo
	ds_load_b128 v[2:5], v36
	ds_load_b128 v[6:9], v36 offset:2816
	ds_load_b128 v[10:13], v36 offset:5632
	;; [unrolled: 1-line block ×3, first 2 shown]
	v_lshlrev_b64_e32 v[22:23], 4, v[0:1]
	v_add_nc_u32_e32 v0, 0x210, v80
	v_add_co_u32 v18, vcc_lo, v37, v18
	s_wait_alu 0xfffd
	v_add_co_ci_u32_e32 v19, vcc_lo, v38, v19, vcc_lo
	s_delay_alu instid0(VALU_DEP_3) | instskip(SKIP_4) | instid1(VALU_DEP_3)
	v_lshlrev_b64_e32 v[24:25], 4, v[0:1]
	v_add_nc_u32_e32 v0, 0x2c0, v80
	v_add_co_u32 v22, vcc_lo, v37, v22
	s_wait_alu 0xfffd
	v_add_co_ci_u32_e32 v23, vcc_lo, v38, v23, vcc_lo
	v_lshlrev_b64_e32 v[26:27], 4, v[0:1]
	v_add_nc_u32_e32 v0, 0x370, v80
	v_add_co_u32 v24, vcc_lo, v37, v24
	s_wait_alu 0xfffd
	v_add_co_ci_u32_e32 v25, vcc_lo, v38, v25, vcc_lo
	s_wait_dscnt 0x3
	global_store_b128 v[20:21], v[2:5], off
	s_wait_dscnt 0x2
	global_store_b128 v[18:19], v[6:9], off
	;; [unrolled: 2-line block ×4, first 2 shown]
	v_lshlrev_b64_e32 v[10:11], 4, v[0:1]
	v_add_nc_u32_e32 v0, 0x420, v80
	v_add_co_u32 v26, vcc_lo, v37, v26
	s_wait_alu 0xfffd
	v_add_co_ci_u32_e32 v27, vcc_lo, v38, v27, vcc_lo
	s_delay_alu instid0(VALU_DEP_3) | instskip(SKIP_4) | instid1(VALU_DEP_4)
	v_lshlrev_b64_e32 v[12:13], 4, v[0:1]
	v_add_co_u32 v28, vcc_lo, v37, v10
	v_add_nc_u32_e32 v0, 0x4d0, v80
	s_wait_alu 0xfffd
	v_add_co_ci_u32_e32 v29, vcc_lo, v38, v11, vcc_lo
	v_add_co_u32 v32, vcc_lo, v37, v12
	ds_load_b128 v[2:5], v36 offset:11264
	ds_load_b128 v[6:9], v36 offset:14080
	s_wait_alu 0xfffd
	v_add_co_ci_u32_e32 v33, vcc_lo, v38, v13, vcc_lo
	ds_load_b128 v[10:13], v36 offset:16896
	ds_load_b128 v[14:17], v36 offset:19712
	;; [unrolled: 1-line block ×4, first 2 shown]
	v_lshlrev_b64_e32 v[30:31], 4, v[0:1]
	v_add_nc_u32_e32 v0, 0x580, v80
	s_delay_alu instid0(VALU_DEP_1) | instskip(SKIP_1) | instid1(VALU_DEP_4)
	v_lshlrev_b64_e32 v[34:35], 4, v[0:1]
	v_add_nc_u32_e32 v0, 0x630, v80
	v_add_co_u32 v30, vcc_lo, v37, v30
	s_wait_alu 0xfffd
	v_add_co_ci_u32_e32 v31, vcc_lo, v38, v31, vcc_lo
	s_delay_alu instid0(VALU_DEP_3) | instskip(SKIP_3) | instid1(VALU_DEP_3)
	v_lshlrev_b64_e32 v[0:1], 4, v[0:1]
	v_add_co_u32 v34, vcc_lo, v37, v34
	s_wait_alu 0xfffd
	v_add_co_ci_u32_e32 v35, vcc_lo, v38, v35, vcc_lo
	v_add_co_u32 v0, vcc_lo, v37, v0
	s_wait_alu 0xfffd
	v_add_co_ci_u32_e32 v1, vcc_lo, v38, v1, vcc_lo
	s_wait_dscnt 0x5
	global_store_b128 v[26:27], v[2:5], off
	s_wait_dscnt 0x4
	global_store_b128 v[28:29], v[6:9], off
	;; [unrolled: 2-line block ×6, first 2 shown]
.LBB0_23:
	s_nop 0
	s_sendmsg sendmsg(MSG_DEALLOC_VGPRS)
	s_endpgm
	.section	.rodata,"a",@progbits
	.p2align	6, 0x0
	.amdhsa_kernel fft_rtc_fwd_len1760_factors_2_2_2_2_2_11_5_wgs_176_tpt_176_halfLds_dp_ip_CI_unitstride_sbrr_C2R_dirReg
		.amdhsa_group_segment_fixed_size 0
		.amdhsa_private_segment_fixed_size 0
		.amdhsa_kernarg_size 88
		.amdhsa_user_sgpr_count 2
		.amdhsa_user_sgpr_dispatch_ptr 0
		.amdhsa_user_sgpr_queue_ptr 0
		.amdhsa_user_sgpr_kernarg_segment_ptr 1
		.amdhsa_user_sgpr_dispatch_id 0
		.amdhsa_user_sgpr_private_segment_size 0
		.amdhsa_wavefront_size32 1
		.amdhsa_uses_dynamic_stack 0
		.amdhsa_enable_private_segment 0
		.amdhsa_system_sgpr_workgroup_id_x 1
		.amdhsa_system_sgpr_workgroup_id_y 0
		.amdhsa_system_sgpr_workgroup_id_z 0
		.amdhsa_system_sgpr_workgroup_info 0
		.amdhsa_system_vgpr_workitem_id 0
		.amdhsa_next_free_vgpr 190
		.amdhsa_next_free_sgpr 36
		.amdhsa_reserve_vcc 1
		.amdhsa_float_round_mode_32 0
		.amdhsa_float_round_mode_16_64 0
		.amdhsa_float_denorm_mode_32 3
		.amdhsa_float_denorm_mode_16_64 3
		.amdhsa_fp16_overflow 0
		.amdhsa_workgroup_processor_mode 1
		.amdhsa_memory_ordered 1
		.amdhsa_forward_progress 0
		.amdhsa_round_robin_scheduling 0
		.amdhsa_exception_fp_ieee_invalid_op 0
		.amdhsa_exception_fp_denorm_src 0
		.amdhsa_exception_fp_ieee_div_zero 0
		.amdhsa_exception_fp_ieee_overflow 0
		.amdhsa_exception_fp_ieee_underflow 0
		.amdhsa_exception_fp_ieee_inexact 0
		.amdhsa_exception_int_div_zero 0
	.end_amdhsa_kernel
	.text
.Lfunc_end0:
	.size	fft_rtc_fwd_len1760_factors_2_2_2_2_2_11_5_wgs_176_tpt_176_halfLds_dp_ip_CI_unitstride_sbrr_C2R_dirReg, .Lfunc_end0-fft_rtc_fwd_len1760_factors_2_2_2_2_2_11_5_wgs_176_tpt_176_halfLds_dp_ip_CI_unitstride_sbrr_C2R_dirReg
                                        ; -- End function
	.section	.AMDGPU.csdata,"",@progbits
; Kernel info:
; codeLenInByte = 10424
; NumSgprs: 38
; NumVgprs: 190
; ScratchSize: 0
; MemoryBound: 0
; FloatMode: 240
; IeeeMode: 1
; LDSByteSize: 0 bytes/workgroup (compile time only)
; SGPRBlocks: 4
; VGPRBlocks: 23
; NumSGPRsForWavesPerEU: 38
; NumVGPRsForWavesPerEU: 190
; Occupancy: 8
; WaveLimiterHint : 1
; COMPUTE_PGM_RSRC2:SCRATCH_EN: 0
; COMPUTE_PGM_RSRC2:USER_SGPR: 2
; COMPUTE_PGM_RSRC2:TRAP_HANDLER: 0
; COMPUTE_PGM_RSRC2:TGID_X_EN: 1
; COMPUTE_PGM_RSRC2:TGID_Y_EN: 0
; COMPUTE_PGM_RSRC2:TGID_Z_EN: 0
; COMPUTE_PGM_RSRC2:TIDIG_COMP_CNT: 0
	.text
	.p2alignl 7, 3214868480
	.fill 96, 4, 3214868480
	.type	__hip_cuid_79cab12b760e7afa,@object ; @__hip_cuid_79cab12b760e7afa
	.section	.bss,"aw",@nobits
	.globl	__hip_cuid_79cab12b760e7afa
__hip_cuid_79cab12b760e7afa:
	.byte	0                               ; 0x0
	.size	__hip_cuid_79cab12b760e7afa, 1

	.ident	"AMD clang version 19.0.0git (https://github.com/RadeonOpenCompute/llvm-project roc-6.4.0 25133 c7fe45cf4b819c5991fe208aaa96edf142730f1d)"
	.section	".note.GNU-stack","",@progbits
	.addrsig
	.addrsig_sym __hip_cuid_79cab12b760e7afa
	.amdgpu_metadata
---
amdhsa.kernels:
  - .args:
      - .actual_access:  read_only
        .address_space:  global
        .offset:         0
        .size:           8
        .value_kind:     global_buffer
      - .offset:         8
        .size:           8
        .value_kind:     by_value
      - .actual_access:  read_only
        .address_space:  global
        .offset:         16
        .size:           8
        .value_kind:     global_buffer
      - .actual_access:  read_only
        .address_space:  global
        .offset:         24
        .size:           8
        .value_kind:     global_buffer
      - .offset:         32
        .size:           8
        .value_kind:     by_value
      - .actual_access:  read_only
        .address_space:  global
        .offset:         40
        .size:           8
        .value_kind:     global_buffer
      - .actual_access:  read_only
        .address_space:  global
        .offset:         48
        .size:           8
        .value_kind:     global_buffer
      - .offset:         56
        .size:           4
        .value_kind:     by_value
      - .actual_access:  read_only
        .address_space:  global
        .offset:         64
        .size:           8
        .value_kind:     global_buffer
      - .actual_access:  read_only
        .address_space:  global
        .offset:         72
        .size:           8
        .value_kind:     global_buffer
      - .address_space:  global
        .offset:         80
        .size:           8
        .value_kind:     global_buffer
    .group_segment_fixed_size: 0
    .kernarg_segment_align: 8
    .kernarg_segment_size: 88
    .language:       OpenCL C
    .language_version:
      - 2
      - 0
    .max_flat_workgroup_size: 176
    .name:           fft_rtc_fwd_len1760_factors_2_2_2_2_2_11_5_wgs_176_tpt_176_halfLds_dp_ip_CI_unitstride_sbrr_C2R_dirReg
    .private_segment_fixed_size: 0
    .sgpr_count:     38
    .sgpr_spill_count: 0
    .symbol:         fft_rtc_fwd_len1760_factors_2_2_2_2_2_11_5_wgs_176_tpt_176_halfLds_dp_ip_CI_unitstride_sbrr_C2R_dirReg.kd
    .uniform_work_group_size: 1
    .uses_dynamic_stack: false
    .vgpr_count:     190
    .vgpr_spill_count: 0
    .wavefront_size: 32
    .workgroup_processor_mode: 1
amdhsa.target:   amdgcn-amd-amdhsa--gfx1201
amdhsa.version:
  - 1
  - 2
...

	.end_amdgpu_metadata
